;; amdgpu-corpus repo=zjin-lcf/HeCBench kind=compiled arch=gfx1250 opt=O3
	.amdgcn_target "amdgcn-amd-amdhsa--gfx1250"
	.amdhsa_code_object_version 6
	.section	.text._Z10matrix_mulI6__halfEvPT_S2_S2_iiiS1_S1_,"axG",@progbits,_Z10matrix_mulI6__halfEvPT_S2_S2_iiiS1_S1_,comdat
	.protected	_Z10matrix_mulI6__halfEvPT_S2_S2_iiiS1_S1_ ; -- Begin function _Z10matrix_mulI6__halfEvPT_S2_S2_iiiS1_S1_
	.globl	_Z10matrix_mulI6__halfEvPT_S2_S2_iiiS1_S1_
	.p2align	8
	.type	_Z10matrix_mulI6__halfEvPT_S2_S2_iiiS1_S1_,@function
_Z10matrix_mulI6__halfEvPT_S2_S2_iiiS1_S1_: ; @_Z10matrix_mulI6__halfEvPT_S2_S2_iiiS1_S1_
; %bb.0:
	s_load_b96 s[8:10], s[0:1], 0x18
	s_bfe_u32 s2, ttmp6, 0x4000c
	s_bfe_u32 s4, ttmp6, 0x40010
	s_add_co_i32 s2, s2, 1
	s_and_b32 s3, ttmp6, 15
	s_mul_i32 s2, ttmp9, s2
	s_add_co_i32 s4, s4, 1
	s_add_co_i32 s3, s3, s2
	s_mul_i32 s2, ttmp7, s4
	s_bfe_u32 s4, ttmp6, 0x40004
	s_getreg_b32 s5, hwreg(HW_REG_IB_STS2, 6, 4)
	s_add_co_i32 s4, s4, s2
	v_bfe_u32 v1, v0, 10, 10
	v_and_b32_e32 v0, 0x3ff, v0
	s_cmp_eq_u32 s5, 0
	s_cselect_b32 s2, ttmp7, s4
	s_cselect_b32 s3, ttmp9, s3
	v_lshl_add_u32 v2, s2, 4, v1
	v_lshl_add_u32 v3, s3, 4, v0
	s_wait_kmcnt 0x0
	s_delay_alu instid0(VALU_DEP_2) | instskip(NEXT) | instid1(VALU_DEP_2)
	v_cmp_gt_i32_e32 vcc_lo, s8, v2
	v_cmp_gt_i32_e64 s2, s10, v3
	s_and_b32 s2, vcc_lo, s2
	s_delay_alu instid0(SALU_CYCLE_1)
	s_and_saveexec_b32 s3, s2
	s_cbranch_execz .LBB0_5
; %bb.1:
	v_mov_b32_e32 v5, 0
	s_clause 0x1
	s_load_b128 s[4:7], s[0:1], 0x0
	s_load_b64 s[2:3], s[0:1], 0x10
	s_cmp_lt_i32 s9, 1
	global_load_b32 v4, v5, s[0:1] offset:36
	s_cbranch_scc1 .LBB0_4
; %bb.2:
	v_mul_lo_u32 v0, s9, v2
	s_wait_xcnt 0x0
	v_dual_mov_b32 v6, v3 :: v_dual_mov_b32 v5, 0
	s_delay_alu instid0(VALU_DEP_2) | instskip(SKIP_1) | instid1(VALU_DEP_1)
	v_ashrrev_i32_e32 v1, 31, v0
	s_wait_kmcnt 0x0
	v_lshl_add_u64 v[0:1], v[0:1], 1, s[4:5]
.LBB0_3:                                ; =>This Inner Loop Header: Depth=1
	global_load_u16 v7, v[0:1], off
	global_load_u16 v8, v6, s[6:7] scale_offset
	s_wait_xcnt 0x1
	v_add_nc_u64_e32 v[0:1], 2, v[0:1]
	s_wait_xcnt 0x0
	v_add_nc_u32_e32 v6, s10, v6
	s_add_co_i32 s9, s9, -1
	s_delay_alu instid0(SALU_CYCLE_1)
	s_cmp_eq_u32 s9, 0
	s_wait_loadcnt 0x0
	v_fmac_f16_e32 v5, v7, v8
	s_cbranch_scc0 .LBB0_3
.LBB0_4:
	v_mad_u32 v0, s10, v2, v3
	s_wait_loadcnt 0x0
	v_lshrrev_b32_e32 v2, 16, v4
	s_wait_kmcnt 0x0
	global_load_u16 v1, v0, s[2:3] scale_offset
	s_wait_loadcnt 0x0
	v_mul_f16_e32 v1, v2, v1
	s_delay_alu instid0(VALU_DEP_1)
	v_fmac_f16_e32 v1, v4, v5
	global_store_b16 v0, v1, s[2:3] scale_offset
.LBB0_5:
	s_endpgm
	.section	.rodata,"a",@progbits
	.p2align	6, 0x0
	.amdhsa_kernel _Z10matrix_mulI6__halfEvPT_S2_S2_iiiS1_S1_
		.amdhsa_group_segment_fixed_size 0
		.amdhsa_private_segment_fixed_size 0
		.amdhsa_kernarg_size 40
		.amdhsa_user_sgpr_count 2
		.amdhsa_user_sgpr_dispatch_ptr 0
		.amdhsa_user_sgpr_queue_ptr 0
		.amdhsa_user_sgpr_kernarg_segment_ptr 1
		.amdhsa_user_sgpr_dispatch_id 0
		.amdhsa_user_sgpr_kernarg_preload_length 0
		.amdhsa_user_sgpr_kernarg_preload_offset 0
		.amdhsa_user_sgpr_private_segment_size 0
		.amdhsa_wavefront_size32 1
		.amdhsa_uses_dynamic_stack 0
		.amdhsa_enable_private_segment 0
		.amdhsa_system_sgpr_workgroup_id_x 1
		.amdhsa_system_sgpr_workgroup_id_y 1
		.amdhsa_system_sgpr_workgroup_id_z 0
		.amdhsa_system_sgpr_workgroup_info 0
		.amdhsa_system_vgpr_workitem_id 1
		.amdhsa_next_free_vgpr 9
		.amdhsa_next_free_sgpr 11
		.amdhsa_named_barrier_count 0
		.amdhsa_reserve_vcc 1
		.amdhsa_float_round_mode_32 0
		.amdhsa_float_round_mode_16_64 0
		.amdhsa_float_denorm_mode_32 3
		.amdhsa_float_denorm_mode_16_64 3
		.amdhsa_fp16_overflow 0
		.amdhsa_memory_ordered 1
		.amdhsa_forward_progress 1
		.amdhsa_inst_pref_size 3
		.amdhsa_round_robin_scheduling 0
		.amdhsa_exception_fp_ieee_invalid_op 0
		.amdhsa_exception_fp_denorm_src 0
		.amdhsa_exception_fp_ieee_div_zero 0
		.amdhsa_exception_fp_ieee_overflow 0
		.amdhsa_exception_fp_ieee_underflow 0
		.amdhsa_exception_fp_ieee_inexact 0
		.amdhsa_exception_int_div_zero 0
	.end_amdhsa_kernel
	.section	.text._Z10matrix_mulI6__halfEvPT_S2_S2_iiiS1_S1_,"axG",@progbits,_Z10matrix_mulI6__halfEvPT_S2_S2_iiiS1_S1_,comdat
.Lfunc_end0:
	.size	_Z10matrix_mulI6__halfEvPT_S2_S2_iiiS1_S1_, .Lfunc_end0-_Z10matrix_mulI6__halfEvPT_S2_S2_iiiS1_S1_
                                        ; -- End function
	.set _Z10matrix_mulI6__halfEvPT_S2_S2_iiiS1_S1_.num_vgpr, 9
	.set _Z10matrix_mulI6__halfEvPT_S2_S2_iiiS1_S1_.num_agpr, 0
	.set _Z10matrix_mulI6__halfEvPT_S2_S2_iiiS1_S1_.numbered_sgpr, 11
	.set _Z10matrix_mulI6__halfEvPT_S2_S2_iiiS1_S1_.num_named_barrier, 0
	.set _Z10matrix_mulI6__halfEvPT_S2_S2_iiiS1_S1_.private_seg_size, 0
	.set _Z10matrix_mulI6__halfEvPT_S2_S2_iiiS1_S1_.uses_vcc, 1
	.set _Z10matrix_mulI6__halfEvPT_S2_S2_iiiS1_S1_.uses_flat_scratch, 0
	.set _Z10matrix_mulI6__halfEvPT_S2_S2_iiiS1_S1_.has_dyn_sized_stack, 0
	.set _Z10matrix_mulI6__halfEvPT_S2_S2_iiiS1_S1_.has_recursion, 0
	.set _Z10matrix_mulI6__halfEvPT_S2_S2_iiiS1_S1_.has_indirect_call, 0
	.section	.AMDGPU.csdata,"",@progbits
; Kernel info:
; codeLenInByte = 356
; TotalNumSgprs: 13
; NumVgprs: 9
; ScratchSize: 0
; MemoryBound: 0
; FloatMode: 240
; IeeeMode: 1
; LDSByteSize: 0 bytes/workgroup (compile time only)
; SGPRBlocks: 0
; VGPRBlocks: 0
; NumSGPRsForWavesPerEU: 13
; NumVGPRsForWavesPerEU: 9
; NamedBarCnt: 0
; Occupancy: 16
; WaveLimiterHint : 0
; COMPUTE_PGM_RSRC2:SCRATCH_EN: 0
; COMPUTE_PGM_RSRC2:USER_SGPR: 2
; COMPUTE_PGM_RSRC2:TRAP_HANDLER: 0
; COMPUTE_PGM_RSRC2:TGID_X_EN: 1
; COMPUTE_PGM_RSRC2:TGID_Y_EN: 1
; COMPUTE_PGM_RSRC2:TGID_Z_EN: 0
; COMPUTE_PGM_RSRC2:TIDIG_COMP_CNT: 1
	.section	.text._Z10matrix_mulIfEvPT_S1_S1_iiiS0_S0_,"axG",@progbits,_Z10matrix_mulIfEvPT_S1_S1_iiiS0_S0_,comdat
	.protected	_Z10matrix_mulIfEvPT_S1_S1_iiiS0_S0_ ; -- Begin function _Z10matrix_mulIfEvPT_S1_S1_iiiS0_S0_
	.globl	_Z10matrix_mulIfEvPT_S1_S1_iiiS0_S0_
	.p2align	8
	.type	_Z10matrix_mulIfEvPT_S1_S1_iiiS0_S0_,@function
_Z10matrix_mulIfEvPT_S1_S1_iiiS0_S0_:   ; @_Z10matrix_mulIfEvPT_S1_S1_iiiS0_S0_
; %bb.0:
	s_load_b128 s[4:7], s[0:1], 0x18
	s_bfe_u32 s2, ttmp6, 0x4000c
	s_bfe_u32 s8, ttmp6, 0x40010
	s_add_co_i32 s2, s2, 1
	s_and_b32 s3, ttmp6, 15
	s_mul_i32 s2, ttmp9, s2
	s_add_co_i32 s8, s8, 1
	s_add_co_i32 s3, s3, s2
	s_mul_i32 s2, ttmp7, s8
	s_bfe_u32 s8, ttmp6, 0x40004
	s_getreg_b32 s9, hwreg(HW_REG_IB_STS2, 6, 4)
	s_add_co_i32 s8, s8, s2
	v_bfe_u32 v1, v0, 10, 10
	v_and_b32_e32 v0, 0x3ff, v0
	s_cmp_eq_u32 s9, 0
	s_cselect_b32 s2, ttmp7, s8
	s_cselect_b32 s3, ttmp9, s3
	v_lshl_add_u32 v1, s2, 4, v1
	v_lshl_add_u32 v4, s3, 4, v0
	s_wait_kmcnt 0x0
	s_delay_alu instid0(VALU_DEP_2) | instskip(NEXT) | instid1(VALU_DEP_2)
	v_cmp_gt_i32_e32 vcc_lo, s4, v1
	v_cmp_gt_i32_e64 s2, s6, v4
	s_and_b32 s2, vcc_lo, s2
	s_delay_alu instid0(SALU_CYCLE_1)
	s_and_saveexec_b32 s3, s2
	s_cbranch_execz .LBB1_6
; %bb.1:
	s_clause 0x2
	s_load_b32 s4, s[0:1], 0x28
	s_load_b128 s[8:11], s[0:1], 0x0
	s_load_b64 s[2:3], s[0:1], 0x10
	s_cmp_lt_i32 s5, 1
	s_cbranch_scc1 .LBB1_4
; %bb.2:
	v_mul_lo_u32 v2, s5, v1
	v_dual_mov_b32 v5, v4 :: v_dual_mov_b32 v0, 0
	s_delay_alu instid0(VALU_DEP_2) | instskip(SKIP_1) | instid1(VALU_DEP_1)
	v_ashrrev_i32_e32 v3, 31, v2
	s_wait_kmcnt 0x0
	v_lshl_add_u64 v[2:3], v[2:3], 2, s[8:9]
.LBB1_3:                                ; =>This Inner Loop Header: Depth=1
	global_load_b32 v6, v[2:3], off
	global_load_b32 v7, v5, s[10:11] scale_offset
	s_wait_xcnt 0x1
	v_add_nc_u64_e32 v[2:3], 4, v[2:3]
	s_wait_xcnt 0x0
	v_add_nc_u32_e32 v5, s6, v5
	s_add_co_i32 s5, s5, -1
	s_delay_alu instid0(SALU_CYCLE_1)
	s_cmp_eq_u32 s5, 0
	s_wait_loadcnt 0x0
	v_fmac_f32_e32 v0, v6, v7
	s_cbranch_scc0 .LBB1_3
	s_branch .LBB1_5
.LBB1_4:
	v_mov_b32_e32 v0, 0
.LBB1_5:
	v_mad_u32 v4, s6, v1, v4
	s_wait_kmcnt 0x0
	v_dual_mov_b32 v2, s7 :: v_dual_mov_b32 v3, s4
	global_load_b32 v1, v4, s[2:3] scale_offset
	s_wait_loadcnt 0x0
	v_pk_mul_f32 v[0:1], v[2:3], v[0:1]
	s_delay_alu instid0(VALU_DEP_1)
	v_add_f32_e32 v0, v0, v1
	global_store_b32 v4, v0, s[2:3] scale_offset
.LBB1_6:
	s_endpgm
	.section	.rodata,"a",@progbits
	.p2align	6, 0x0
	.amdhsa_kernel _Z10matrix_mulIfEvPT_S1_S1_iiiS0_S0_
		.amdhsa_group_segment_fixed_size 0
		.amdhsa_private_segment_fixed_size 0
		.amdhsa_kernarg_size 44
		.amdhsa_user_sgpr_count 2
		.amdhsa_user_sgpr_dispatch_ptr 0
		.amdhsa_user_sgpr_queue_ptr 0
		.amdhsa_user_sgpr_kernarg_segment_ptr 1
		.amdhsa_user_sgpr_dispatch_id 0
		.amdhsa_user_sgpr_kernarg_preload_length 0
		.amdhsa_user_sgpr_kernarg_preload_offset 0
		.amdhsa_user_sgpr_private_segment_size 0
		.amdhsa_wavefront_size32 1
		.amdhsa_uses_dynamic_stack 0
		.amdhsa_enable_private_segment 0
		.amdhsa_system_sgpr_workgroup_id_x 1
		.amdhsa_system_sgpr_workgroup_id_y 1
		.amdhsa_system_sgpr_workgroup_id_z 0
		.amdhsa_system_sgpr_workgroup_info 0
		.amdhsa_system_vgpr_workitem_id 1
		.amdhsa_next_free_vgpr 8
		.amdhsa_next_free_sgpr 12
		.amdhsa_named_barrier_count 0
		.amdhsa_reserve_vcc 1
		.amdhsa_float_round_mode_32 0
		.amdhsa_float_round_mode_16_64 0
		.amdhsa_float_denorm_mode_32 3
		.amdhsa_float_denorm_mode_16_64 3
		.amdhsa_fp16_overflow 0
		.amdhsa_memory_ordered 1
		.amdhsa_forward_progress 1
		.amdhsa_inst_pref_size 3
		.amdhsa_round_robin_scheduling 0
		.amdhsa_exception_fp_ieee_invalid_op 0
		.amdhsa_exception_fp_denorm_src 0
		.amdhsa_exception_fp_ieee_div_zero 0
		.amdhsa_exception_fp_ieee_overflow 0
		.amdhsa_exception_fp_ieee_underflow 0
		.amdhsa_exception_fp_ieee_inexact 0
		.amdhsa_exception_int_div_zero 0
	.end_amdhsa_kernel
	.section	.text._Z10matrix_mulIfEvPT_S1_S1_iiiS0_S0_,"axG",@progbits,_Z10matrix_mulIfEvPT_S1_S1_iiiS0_S0_,comdat
.Lfunc_end1:
	.size	_Z10matrix_mulIfEvPT_S1_S1_iiiS0_S0_, .Lfunc_end1-_Z10matrix_mulIfEvPT_S1_S1_iiiS0_S0_
                                        ; -- End function
	.set _Z10matrix_mulIfEvPT_S1_S1_iiiS0_S0_.num_vgpr, 8
	.set _Z10matrix_mulIfEvPT_S1_S1_iiiS0_S0_.num_agpr, 0
	.set _Z10matrix_mulIfEvPT_S1_S1_iiiS0_S0_.numbered_sgpr, 12
	.set _Z10matrix_mulIfEvPT_S1_S1_iiiS0_S0_.num_named_barrier, 0
	.set _Z10matrix_mulIfEvPT_S1_S1_iiiS0_S0_.private_seg_size, 0
	.set _Z10matrix_mulIfEvPT_S1_S1_iiiS0_S0_.uses_vcc, 1
	.set _Z10matrix_mulIfEvPT_S1_S1_iiiS0_S0_.uses_flat_scratch, 0
	.set _Z10matrix_mulIfEvPT_S1_S1_iiiS0_S0_.has_dyn_sized_stack, 0
	.set _Z10matrix_mulIfEvPT_S1_S1_iiiS0_S0_.has_recursion, 0
	.set _Z10matrix_mulIfEvPT_S1_S1_iiiS0_S0_.has_indirect_call, 0
	.section	.AMDGPU.csdata,"",@progbits
; Kernel info:
; codeLenInByte = 356
; TotalNumSgprs: 14
; NumVgprs: 8
; ScratchSize: 0
; MemoryBound: 0
; FloatMode: 240
; IeeeMode: 1
; LDSByteSize: 0 bytes/workgroup (compile time only)
; SGPRBlocks: 0
; VGPRBlocks: 0
; NumSGPRsForWavesPerEU: 14
; NumVGPRsForWavesPerEU: 8
; NamedBarCnt: 0
; Occupancy: 16
; WaveLimiterHint : 0
; COMPUTE_PGM_RSRC2:SCRATCH_EN: 0
; COMPUTE_PGM_RSRC2:USER_SGPR: 2
; COMPUTE_PGM_RSRC2:TRAP_HANDLER: 0
; COMPUTE_PGM_RSRC2:TGID_X_EN: 1
; COMPUTE_PGM_RSRC2:TGID_Y_EN: 1
; COMPUTE_PGM_RSRC2:TGID_Z_EN: 0
; COMPUTE_PGM_RSRC2:TIDIG_COMP_CNT: 1
	.section	.text._Z10matrix_mulIdEvPT_S1_S1_iiiS0_S0_,"axG",@progbits,_Z10matrix_mulIdEvPT_S1_S1_iiiS0_S0_,comdat
	.protected	_Z10matrix_mulIdEvPT_S1_S1_iiiS0_S0_ ; -- Begin function _Z10matrix_mulIdEvPT_S1_S1_iiiS0_S0_
	.globl	_Z10matrix_mulIdEvPT_S1_S1_iiiS0_S0_
	.p2align	8
	.type	_Z10matrix_mulIdEvPT_S1_S1_iiiS0_S0_,@function
_Z10matrix_mulIdEvPT_S1_S1_iiiS0_S0_:   ; @_Z10matrix_mulIdEvPT_S1_S1_iiiS0_S0_
; %bb.0:
	s_load_b96 s[8:10], s[0:1], 0x18
	s_bfe_u32 s2, ttmp6, 0x4000c
	s_bfe_u32 s4, ttmp6, 0x40010
	s_add_co_i32 s2, s2, 1
	s_and_b32 s3, ttmp6, 15
	s_mul_i32 s2, ttmp9, s2
	s_add_co_i32 s4, s4, 1
	s_add_co_i32 s3, s3, s2
	s_mul_i32 s2, ttmp7, s4
	s_bfe_u32 s4, ttmp6, 0x40004
	s_getreg_b32 s5, hwreg(HW_REG_IB_STS2, 6, 4)
	s_add_co_i32 s4, s4, s2
	v_bfe_u32 v1, v0, 10, 10
	v_and_b32_e32 v0, 0x3ff, v0
	s_cmp_eq_u32 s5, 0
	s_cselect_b32 s2, ttmp7, s4
	s_cselect_b32 s3, ttmp9, s3
	v_lshl_add_u32 v4, s2, 4, v1
	v_lshl_add_u32 v5, s3, 4, v0
	s_wait_kmcnt 0x0
	s_delay_alu instid0(VALU_DEP_2) | instskip(NEXT) | instid1(VALU_DEP_2)
	v_cmp_gt_i32_e32 vcc_lo, s8, v4
	v_cmp_gt_i32_e64 s2, s10, v5
	s_and_b32 s2, vcc_lo, s2
	s_delay_alu instid0(SALU_CYCLE_1)
	s_and_saveexec_b32 s3, s2
	s_cbranch_execz .LBB2_6
; %bb.1:
	s_clause 0x1
	s_load_b128 s[4:7], s[0:1], 0x0
	s_load_b64 s[2:3], s[0:1], 0x10
	s_cmp_lt_i32 s9, 1
	s_cbranch_scc1 .LBB2_4
; %bb.2:
	v_mul_lo_u32 v2, s9, v4
	v_mov_b64_e32 v[0:1], 0
	s_delay_alu instid0(VALU_DEP_2) | instskip(SKIP_1) | instid1(VALU_DEP_1)
	v_dual_mov_b32 v6, v5 :: v_dual_ashrrev_i32 v3, 31, v2
	s_wait_kmcnt 0x0
	v_lshl_add_u64 v[2:3], v[2:3], 3, s[4:5]
.LBB2_3:                                ; =>This Inner Loop Header: Depth=1
	global_load_b64 v[8:9], v[2:3], off
	global_load_b64 v[10:11], v6, s[6:7] scale_offset
	s_wait_xcnt 0x1
	v_add_nc_u64_e32 v[2:3], 8, v[2:3]
	s_wait_xcnt 0x0
	v_add_nc_u32_e32 v6, s10, v6
	s_add_co_i32 s9, s9, -1
	s_delay_alu instid0(SALU_CYCLE_1)
	s_cmp_eq_u32 s9, 0
	s_wait_loadcnt 0x0
	v_fmac_f64_e32 v[0:1], v[8:9], v[10:11]
	s_cbranch_scc0 .LBB2_3
	s_branch .LBB2_5
.LBB2_4:
	v_mov_b64_e32 v[0:1], 0
.LBB2_5:
	v_mad_u32 v4, s10, v4, v5
	s_wait_kmcnt 0x0
	s_load_b128 s[4:7], s[0:1], 0x28
	global_load_b64 v[2:3], v4, s[2:3] scale_offset
	s_wait_loadcnt 0x0
	s_wait_kmcnt 0x0
	v_mul_f64_e32 v[2:3], s[6:7], v[2:3]
	s_delay_alu instid0(VALU_DEP_1)
	v_fmac_f64_e32 v[2:3], s[4:5], v[0:1]
	global_store_b64 v4, v[2:3], s[2:3] scale_offset
.LBB2_6:
	s_endpgm
	.section	.rodata,"a",@progbits
	.p2align	6, 0x0
	.amdhsa_kernel _Z10matrix_mulIdEvPT_S1_S1_iiiS0_S0_
		.amdhsa_group_segment_fixed_size 0
		.amdhsa_private_segment_fixed_size 0
		.amdhsa_kernarg_size 56
		.amdhsa_user_sgpr_count 2
		.amdhsa_user_sgpr_dispatch_ptr 0
		.amdhsa_user_sgpr_queue_ptr 0
		.amdhsa_user_sgpr_kernarg_segment_ptr 1
		.amdhsa_user_sgpr_dispatch_id 0
		.amdhsa_user_sgpr_kernarg_preload_length 0
		.amdhsa_user_sgpr_kernarg_preload_offset 0
		.amdhsa_user_sgpr_private_segment_size 0
		.amdhsa_wavefront_size32 1
		.amdhsa_uses_dynamic_stack 0
		.amdhsa_enable_private_segment 0
		.amdhsa_system_sgpr_workgroup_id_x 1
		.amdhsa_system_sgpr_workgroup_id_y 1
		.amdhsa_system_sgpr_workgroup_id_z 0
		.amdhsa_system_sgpr_workgroup_info 0
		.amdhsa_system_vgpr_workitem_id 1
		.amdhsa_next_free_vgpr 12
		.amdhsa_next_free_sgpr 11
		.amdhsa_named_barrier_count 0
		.amdhsa_reserve_vcc 1
		.amdhsa_float_round_mode_32 0
		.amdhsa_float_round_mode_16_64 0
		.amdhsa_float_denorm_mode_32 3
		.amdhsa_float_denorm_mode_16_64 3
		.amdhsa_fp16_overflow 0
		.amdhsa_memory_ordered 1
		.amdhsa_forward_progress 1
		.amdhsa_inst_pref_size 3
		.amdhsa_round_robin_scheduling 0
		.amdhsa_exception_fp_ieee_invalid_op 0
		.amdhsa_exception_fp_denorm_src 0
		.amdhsa_exception_fp_ieee_div_zero 0
		.amdhsa_exception_fp_ieee_overflow 0
		.amdhsa_exception_fp_ieee_underflow 0
		.amdhsa_exception_fp_ieee_inexact 0
		.amdhsa_exception_int_div_zero 0
	.end_amdhsa_kernel
	.section	.text._Z10matrix_mulIdEvPT_S1_S1_iiiS0_S0_,"axG",@progbits,_Z10matrix_mulIdEvPT_S1_S1_iiiS0_S0_,comdat
.Lfunc_end2:
	.size	_Z10matrix_mulIdEvPT_S1_S1_iiiS0_S0_, .Lfunc_end2-_Z10matrix_mulIdEvPT_S1_S1_iiiS0_S0_
                                        ; -- End function
	.set _Z10matrix_mulIdEvPT_S1_S1_iiiS0_S0_.num_vgpr, 12
	.set _Z10matrix_mulIdEvPT_S1_S1_iiiS0_S0_.num_agpr, 0
	.set _Z10matrix_mulIdEvPT_S1_S1_iiiS0_S0_.numbered_sgpr, 11
	.set _Z10matrix_mulIdEvPT_S1_S1_iiiS0_S0_.num_named_barrier, 0
	.set _Z10matrix_mulIdEvPT_S1_S1_iiiS0_S0_.private_seg_size, 0
	.set _Z10matrix_mulIdEvPT_S1_S1_iiiS0_S0_.uses_vcc, 1
	.set _Z10matrix_mulIdEvPT_S1_S1_iiiS0_S0_.uses_flat_scratch, 0
	.set _Z10matrix_mulIdEvPT_S1_S1_iiiS0_S0_.has_dyn_sized_stack, 0
	.set _Z10matrix_mulIdEvPT_S1_S1_iiiS0_S0_.has_recursion, 0
	.set _Z10matrix_mulIdEvPT_S1_S1_iiiS0_S0_.has_indirect_call, 0
	.section	.AMDGPU.csdata,"",@progbits
; Kernel info:
; codeLenInByte = 348
; TotalNumSgprs: 13
; NumVgprs: 12
; ScratchSize: 0
; MemoryBound: 0
; FloatMode: 240
; IeeeMode: 1
; LDSByteSize: 0 bytes/workgroup (compile time only)
; SGPRBlocks: 0
; VGPRBlocks: 0
; NumSGPRsForWavesPerEU: 13
; NumVGPRsForWavesPerEU: 12
; NamedBarCnt: 0
; Occupancy: 16
; WaveLimiterHint : 0
; COMPUTE_PGM_RSRC2:SCRATCH_EN: 0
; COMPUTE_PGM_RSRC2:USER_SGPR: 2
; COMPUTE_PGM_RSRC2:TRAP_HANDLER: 0
; COMPUTE_PGM_RSRC2:TGID_X_EN: 1
; COMPUTE_PGM_RSRC2:TGID_Y_EN: 1
; COMPUTE_PGM_RSRC2:TGID_Z_EN: 0
; COMPUTE_PGM_RSRC2:TIDIG_COMP_CNT: 1
	.section	.AMDGPU.gpr_maximums,"",@progbits
	.set amdgpu.max_num_vgpr, 0
	.set amdgpu.max_num_agpr, 0
	.set amdgpu.max_num_sgpr, 0
	.section	.AMDGPU.csdata,"",@progbits
	.type	__hip_cuid_2ad5f733f897130c,@object ; @__hip_cuid_2ad5f733f897130c
	.section	.bss,"aw",@nobits
	.globl	__hip_cuid_2ad5f733f897130c
__hip_cuid_2ad5f733f897130c:
	.byte	0                               ; 0x0
	.size	__hip_cuid_2ad5f733f897130c, 1

	.ident	"AMD clang version 22.0.0git (https://github.com/RadeonOpenCompute/llvm-project roc-7.2.4 26084 f58b06dce1f9c15707c5f808fd002e18c2accf7e)"
	.section	".note.GNU-stack","",@progbits
	.addrsig
	.addrsig_sym __hip_cuid_2ad5f733f897130c
	.amdgpu_metadata
---
amdhsa.kernels:
  - .args:
      - .address_space:  global
        .offset:         0
        .size:           8
        .value_kind:     global_buffer
      - .address_space:  global
        .offset:         8
        .size:           8
        .value_kind:     global_buffer
      - .address_space:  global
        .offset:         16
        .size:           8
        .value_kind:     global_buffer
      - .offset:         24
        .size:           4
        .value_kind:     by_value
      - .offset:         28
        .size:           4
        .value_kind:     by_value
      - .offset:         32
        .size:           4
        .value_kind:     by_value
      - .offset:         36
        .size:           2
        .value_kind:     by_value
      - .offset:         38
        .size:           2
        .value_kind:     by_value
    .group_segment_fixed_size: 0
    .kernarg_segment_align: 8
    .kernarg_segment_size: 40
    .language:       OpenCL C
    .language_version:
      - 2
      - 0
    .max_flat_workgroup_size: 1024
    .name:           _Z10matrix_mulI6__halfEvPT_S2_S2_iiiS1_S1_
    .private_segment_fixed_size: 0
    .sgpr_count:     13
    .sgpr_spill_count: 0
    .symbol:         _Z10matrix_mulI6__halfEvPT_S2_S2_iiiS1_S1_.kd
    .uniform_work_group_size: 1
    .uses_dynamic_stack: false
    .vgpr_count:     9
    .vgpr_spill_count: 0
    .wavefront_size: 32
  - .args:
      - .address_space:  global
        .offset:         0
        .size:           8
        .value_kind:     global_buffer
      - .address_space:  global
        .offset:         8
        .size:           8
        .value_kind:     global_buffer
      - .address_space:  global
        .offset:         16
        .size:           8
        .value_kind:     global_buffer
      - .offset:         24
        .size:           4
        .value_kind:     by_value
      - .offset:         28
        .size:           4
        .value_kind:     by_value
      - .offset:         32
        .size:           4
        .value_kind:     by_value
      - .offset:         36
        .size:           4
        .value_kind:     by_value
      - .offset:         40
        .size:           4
        .value_kind:     by_value
    .group_segment_fixed_size: 0
    .kernarg_segment_align: 8
    .kernarg_segment_size: 44
    .language:       OpenCL C
    .language_version:
      - 2
      - 0
    .max_flat_workgroup_size: 1024
    .name:           _Z10matrix_mulIfEvPT_S1_S1_iiiS0_S0_
    .private_segment_fixed_size: 0
    .sgpr_count:     14
    .sgpr_spill_count: 0
    .symbol:         _Z10matrix_mulIfEvPT_S1_S1_iiiS0_S0_.kd
    .uniform_work_group_size: 1
    .uses_dynamic_stack: false
    .vgpr_count:     8
    .vgpr_spill_count: 0
    .wavefront_size: 32
  - .args:
      - .address_space:  global
        .offset:         0
        .size:           8
        .value_kind:     global_buffer
      - .address_space:  global
        .offset:         8
        .size:           8
        .value_kind:     global_buffer
      - .address_space:  global
        .offset:         16
        .size:           8
        .value_kind:     global_buffer
      - .offset:         24
        .size:           4
        .value_kind:     by_value
      - .offset:         28
        .size:           4
        .value_kind:     by_value
      - .offset:         32
        .size:           4
        .value_kind:     by_value
      - .offset:         40
        .size:           8
        .value_kind:     by_value
      - .offset:         48
        .size:           8
        .value_kind:     by_value
    .group_segment_fixed_size: 0
    .kernarg_segment_align: 8
    .kernarg_segment_size: 56
    .language:       OpenCL C
    .language_version:
      - 2
      - 0
    .max_flat_workgroup_size: 1024
    .name:           _Z10matrix_mulIdEvPT_S1_S1_iiiS0_S0_
    .private_segment_fixed_size: 0
    .sgpr_count:     13
    .sgpr_spill_count: 0
    .symbol:         _Z10matrix_mulIdEvPT_S1_S1_iiiS0_S0_.kd
    .uniform_work_group_size: 1
    .uses_dynamic_stack: false
    .vgpr_count:     12
    .vgpr_spill_count: 0
    .wavefront_size: 32
amdhsa.target:   amdgcn-amd-amdhsa--gfx1250
amdhsa.version:
  - 1
  - 2
...

	.end_amdgpu_metadata
